;; amdgpu-corpus repo=ROCm/rocFFT kind=compiled arch=gfx906 opt=O3
	.text
	.amdgcn_target "amdgcn-amd-amdhsa--gfx906"
	.amdhsa_code_object_version 6
	.protected	fft_rtc_fwd_len768_factors_16_3_16_wgs_48_tpt_48_halfLds_sp_ip_CI_unitstride_sbrr_R2C_dirReg ; -- Begin function fft_rtc_fwd_len768_factors_16_3_16_wgs_48_tpt_48_halfLds_sp_ip_CI_unitstride_sbrr_R2C_dirReg
	.globl	fft_rtc_fwd_len768_factors_16_3_16_wgs_48_tpt_48_halfLds_sp_ip_CI_unitstride_sbrr_R2C_dirReg
	.p2align	8
	.type	fft_rtc_fwd_len768_factors_16_3_16_wgs_48_tpt_48_halfLds_sp_ip_CI_unitstride_sbrr_R2C_dirReg,@function
fft_rtc_fwd_len768_factors_16_3_16_wgs_48_tpt_48_halfLds_sp_ip_CI_unitstride_sbrr_R2C_dirReg: ; @fft_rtc_fwd_len768_factors_16_3_16_wgs_48_tpt_48_halfLds_sp_ip_CI_unitstride_sbrr_R2C_dirReg
; %bb.0:
	s_load_dwordx2 s[2:3], s[4:5], 0x50
	s_load_dwordx4 s[8:11], s[4:5], 0x0
	s_load_dwordx2 s[12:13], s[4:5], 0x18
	v_mul_u32_u24_e32 v1, 0x556, v0
	v_add_u32_sdwa v5, s6, v1 dst_sel:DWORD dst_unused:UNUSED_PAD src0_sel:DWORD src1_sel:WORD_1
	v_mov_b32_e32 v3, 0
	s_waitcnt lgkmcnt(0)
	v_cmp_lt_u64_e64 s[0:1], s[10:11], 2
	v_mov_b32_e32 v1, 0
	v_mov_b32_e32 v6, v3
	s_and_b64 vcc, exec, s[0:1]
	v_mov_b32_e32 v2, 0
	s_cbranch_vccnz .LBB0_8
; %bb.1:
	s_load_dwordx2 s[0:1], s[4:5], 0x10
	s_add_u32 s6, s12, 8
	s_addc_u32 s7, s13, 0
	v_mov_b32_e32 v1, 0
	v_mov_b32_e32 v2, 0
	s_waitcnt lgkmcnt(0)
	s_add_u32 s14, s0, 8
	s_addc_u32 s15, s1, 0
	s_mov_b64 s[16:17], 1
.LBB0_2:                                ; =>This Inner Loop Header: Depth=1
	s_load_dwordx2 s[18:19], s[14:15], 0x0
                                        ; implicit-def: $vgpr7_vgpr8
	s_waitcnt lgkmcnt(0)
	v_or_b32_e32 v4, s19, v6
	v_cmp_ne_u64_e32 vcc, 0, v[3:4]
	s_and_saveexec_b64 s[0:1], vcc
	s_xor_b64 s[20:21], exec, s[0:1]
	s_cbranch_execz .LBB0_4
; %bb.3:                                ;   in Loop: Header=BB0_2 Depth=1
	v_cvt_f32_u32_e32 v4, s18
	v_cvt_f32_u32_e32 v7, s19
	s_sub_u32 s0, 0, s18
	s_subb_u32 s1, 0, s19
	v_mac_f32_e32 v4, 0x4f800000, v7
	v_rcp_f32_e32 v4, v4
	v_mul_f32_e32 v4, 0x5f7ffffc, v4
	v_mul_f32_e32 v7, 0x2f800000, v4
	v_trunc_f32_e32 v7, v7
	v_mac_f32_e32 v4, 0xcf800000, v7
	v_cvt_u32_f32_e32 v7, v7
	v_cvt_u32_f32_e32 v4, v4
	v_mul_lo_u32 v8, s0, v7
	v_mul_hi_u32 v9, s0, v4
	v_mul_lo_u32 v11, s1, v4
	v_mul_lo_u32 v10, s0, v4
	v_add_u32_e32 v8, v9, v8
	v_add_u32_e32 v8, v8, v11
	v_mul_hi_u32 v9, v4, v10
	v_mul_lo_u32 v11, v4, v8
	v_mul_hi_u32 v13, v4, v8
	v_mul_hi_u32 v12, v7, v10
	v_mul_lo_u32 v10, v7, v10
	v_mul_hi_u32 v14, v7, v8
	v_add_co_u32_e32 v9, vcc, v9, v11
	v_addc_co_u32_e32 v11, vcc, 0, v13, vcc
	v_mul_lo_u32 v8, v7, v8
	v_add_co_u32_e32 v9, vcc, v9, v10
	v_addc_co_u32_e32 v9, vcc, v11, v12, vcc
	v_addc_co_u32_e32 v10, vcc, 0, v14, vcc
	v_add_co_u32_e32 v8, vcc, v9, v8
	v_addc_co_u32_e32 v9, vcc, 0, v10, vcc
	v_add_co_u32_e32 v4, vcc, v4, v8
	v_addc_co_u32_e32 v7, vcc, v7, v9, vcc
	v_mul_lo_u32 v8, s0, v7
	v_mul_hi_u32 v9, s0, v4
	v_mul_lo_u32 v10, s1, v4
	v_mul_lo_u32 v11, s0, v4
	v_add_u32_e32 v8, v9, v8
	v_add_u32_e32 v8, v8, v10
	v_mul_lo_u32 v12, v4, v8
	v_mul_hi_u32 v13, v4, v11
	v_mul_hi_u32 v14, v4, v8
	;; [unrolled: 1-line block ×3, first 2 shown]
	v_mul_lo_u32 v11, v7, v11
	v_mul_hi_u32 v9, v7, v8
	v_add_co_u32_e32 v12, vcc, v13, v12
	v_addc_co_u32_e32 v13, vcc, 0, v14, vcc
	v_mul_lo_u32 v8, v7, v8
	v_add_co_u32_e32 v11, vcc, v12, v11
	v_addc_co_u32_e32 v10, vcc, v13, v10, vcc
	v_addc_co_u32_e32 v9, vcc, 0, v9, vcc
	v_add_co_u32_e32 v8, vcc, v10, v8
	v_addc_co_u32_e32 v9, vcc, 0, v9, vcc
	v_add_co_u32_e32 v4, vcc, v4, v8
	v_addc_co_u32_e32 v9, vcc, v7, v9, vcc
	v_mad_u64_u32 v[7:8], s[0:1], v5, v9, 0
	v_mul_hi_u32 v10, v5, v4
	v_add_co_u32_e32 v11, vcc, v10, v7
	v_addc_co_u32_e32 v12, vcc, 0, v8, vcc
	v_mad_u64_u32 v[7:8], s[0:1], v6, v4, 0
	v_mad_u64_u32 v[9:10], s[0:1], v6, v9, 0
	v_add_co_u32_e32 v4, vcc, v11, v7
	v_addc_co_u32_e32 v4, vcc, v12, v8, vcc
	v_addc_co_u32_e32 v7, vcc, 0, v10, vcc
	v_add_co_u32_e32 v4, vcc, v4, v9
	v_addc_co_u32_e32 v9, vcc, 0, v7, vcc
	v_mul_lo_u32 v10, s19, v4
	v_mul_lo_u32 v11, s18, v9
	v_mad_u64_u32 v[7:8], s[0:1], s18, v4, 0
	v_add3_u32 v8, v8, v11, v10
	v_sub_u32_e32 v10, v6, v8
	v_mov_b32_e32 v11, s19
	v_sub_co_u32_e32 v7, vcc, v5, v7
	v_subb_co_u32_e64 v10, s[0:1], v10, v11, vcc
	v_subrev_co_u32_e64 v11, s[0:1], s18, v7
	v_subbrev_co_u32_e64 v10, s[0:1], 0, v10, s[0:1]
	v_cmp_le_u32_e64 s[0:1], s19, v10
	v_cndmask_b32_e64 v12, 0, -1, s[0:1]
	v_cmp_le_u32_e64 s[0:1], s18, v11
	v_cndmask_b32_e64 v11, 0, -1, s[0:1]
	v_cmp_eq_u32_e64 s[0:1], s19, v10
	v_cndmask_b32_e64 v10, v12, v11, s[0:1]
	v_add_co_u32_e64 v11, s[0:1], 2, v4
	v_addc_co_u32_e64 v12, s[0:1], 0, v9, s[0:1]
	v_add_co_u32_e64 v13, s[0:1], 1, v4
	v_addc_co_u32_e64 v14, s[0:1], 0, v9, s[0:1]
	v_subb_co_u32_e32 v8, vcc, v6, v8, vcc
	v_cmp_ne_u32_e64 s[0:1], 0, v10
	v_cmp_le_u32_e32 vcc, s19, v8
	v_cndmask_b32_e64 v10, v14, v12, s[0:1]
	v_cndmask_b32_e64 v12, 0, -1, vcc
	v_cmp_le_u32_e32 vcc, s18, v7
	v_cndmask_b32_e64 v7, 0, -1, vcc
	v_cmp_eq_u32_e32 vcc, s19, v8
	v_cndmask_b32_e32 v7, v12, v7, vcc
	v_cmp_ne_u32_e32 vcc, 0, v7
	v_cndmask_b32_e64 v7, v13, v11, s[0:1]
	v_cndmask_b32_e32 v8, v9, v10, vcc
	v_cndmask_b32_e32 v7, v4, v7, vcc
.LBB0_4:                                ;   in Loop: Header=BB0_2 Depth=1
	s_andn2_saveexec_b64 s[0:1], s[20:21]
	s_cbranch_execz .LBB0_6
; %bb.5:                                ;   in Loop: Header=BB0_2 Depth=1
	v_cvt_f32_u32_e32 v4, s18
	s_sub_i32 s20, 0, s18
	v_rcp_iflag_f32_e32 v4, v4
	v_mul_f32_e32 v4, 0x4f7ffffe, v4
	v_cvt_u32_f32_e32 v4, v4
	v_mul_lo_u32 v7, s20, v4
	v_mul_hi_u32 v7, v4, v7
	v_add_u32_e32 v4, v4, v7
	v_mul_hi_u32 v4, v5, v4
	v_mul_lo_u32 v7, v4, s18
	v_add_u32_e32 v8, 1, v4
	v_sub_u32_e32 v7, v5, v7
	v_subrev_u32_e32 v9, s18, v7
	v_cmp_le_u32_e32 vcc, s18, v7
	v_cndmask_b32_e32 v7, v7, v9, vcc
	v_cndmask_b32_e32 v4, v4, v8, vcc
	v_add_u32_e32 v8, 1, v4
	v_cmp_le_u32_e32 vcc, s18, v7
	v_cndmask_b32_e32 v7, v4, v8, vcc
	v_mov_b32_e32 v8, v3
.LBB0_6:                                ;   in Loop: Header=BB0_2 Depth=1
	s_or_b64 exec, exec, s[0:1]
	v_mul_lo_u32 v4, v8, s18
	v_mul_lo_u32 v11, v7, s19
	v_mad_u64_u32 v[9:10], s[0:1], v7, s18, 0
	s_load_dwordx2 s[0:1], s[6:7], 0x0
	s_add_u32 s16, s16, 1
	v_add3_u32 v4, v10, v11, v4
	v_sub_co_u32_e32 v5, vcc, v5, v9
	v_subb_co_u32_e32 v4, vcc, v6, v4, vcc
	s_waitcnt lgkmcnt(0)
	v_mul_lo_u32 v4, s0, v4
	v_mul_lo_u32 v6, s1, v5
	v_mad_u64_u32 v[1:2], s[0:1], s0, v5, v[1:2]
	s_addc_u32 s17, s17, 0
	s_add_u32 s6, s6, 8
	v_add3_u32 v2, v6, v2, v4
	v_mov_b32_e32 v4, s10
	v_mov_b32_e32 v5, s11
	s_addc_u32 s7, s7, 0
	v_cmp_ge_u64_e32 vcc, s[16:17], v[4:5]
	s_add_u32 s14, s14, 8
	s_addc_u32 s15, s15, 0
	s_cbranch_vccnz .LBB0_9
; %bb.7:                                ;   in Loop: Header=BB0_2 Depth=1
	v_mov_b32_e32 v5, v7
	v_mov_b32_e32 v6, v8
	s_branch .LBB0_2
.LBB0_8:
	v_mov_b32_e32 v8, v6
	v_mov_b32_e32 v7, v5
.LBB0_9:
	s_lshl_b64 s[0:1], s[10:11], 3
	s_add_u32 s0, s12, s0
	s_addc_u32 s1, s13, s1
	s_load_dwordx2 s[6:7], s[0:1], 0x0
	s_load_dwordx2 s[10:11], s[4:5], 0x20
                                        ; implicit-def: $vgpr34
                                        ; implicit-def: $vgpr33
                                        ; implicit-def: $vgpr30
                                        ; implicit-def: $vgpr32
	s_waitcnt lgkmcnt(0)
	v_mad_u64_u32 v[1:2], s[0:1], s6, v7, v[1:2]
	s_mov_b32 s0, 0x5555556
	v_mul_lo_u32 v3, s6, v8
	v_mul_lo_u32 v4, s7, v7
	v_mul_hi_u32 v5, v0, s0
	v_cmp_gt_u64_e32 vcc, s[10:11], v[7:8]
	v_cmp_le_u64_e64 s[0:1], s[10:11], v[7:8]
	v_add3_u32 v2, v4, v2, v3
	v_mul_u32_u24_e32 v3, 48, v5
	v_sub_u32_e32 v24, v0, v3
	v_add_u32_e32 v26, 48, v24
	s_and_saveexec_b64 s[4:5], s[0:1]
	s_xor_b64 s[0:1], exec, s[4:5]
; %bb.10:
	v_add_u32_e32 v26, 48, v24
	v_add_u32_e32 v34, 0x60, v24
	;; [unrolled: 1-line block ×3, first 2 shown]
	v_or_b32_e32 v30, 0xc0, v24
	v_add_u32_e32 v32, 0xf0, v24
; %bb.11:
	s_or_saveexec_b64 s[4:5], s[0:1]
	v_lshlrev_b64 v[28:29], 3, v[1:2]
	v_lshl_add_u32 v47, v24, 3, 0
	s_xor_b64 exec, exec, s[4:5]
	s_cbranch_execz .LBB0_13
; %bb.12:
	v_mov_b32_e32 v25, 0
	v_mov_b32_e32 v0, s3
	v_add_co_u32_e64 v20, s[0:1], s2, v28
	v_addc_co_u32_e64 v21, s[0:1], v0, v29, s[0:1]
	v_lshlrev_b64 v[0:1], 3, v[24:25]
	v_or_b32_e32 v18, 0x240, v24
	v_mov_b32_e32 v19, v25
	v_add_co_u32_e64 v0, s[0:1], v20, v0
	v_lshlrev_b64 v[18:19], 3, v[18:19]
	v_addc_co_u32_e64 v1, s[0:1], v21, v1, s[0:1]
	v_add_co_u32_e64 v18, s[0:1], v20, v18
	v_addc_co_u32_e64 v19, s[0:1], v21, v19, s[0:1]
	s_movk_i32 s0, 0x1000
	v_add_co_u32_e64 v20, s[0:1], s0, v0
	global_load_dwordx2 v[2:3], v[0:1], off
	global_load_dwordx2 v[4:5], v[0:1], off offset:384
	global_load_dwordx2 v[6:7], v[0:1], off offset:768
	;; [unrolled: 1-line block ×7, first 2 shown]
	v_addc_co_u32_e64 v21, s[0:1], 0, v1, s[0:1]
	global_load_dwordx2 v[22:23], v[0:1], off offset:3072
	global_load_dwordx2 v[35:36], v[0:1], off offset:3456
	;; [unrolled: 1-line block ×6, first 2 shown]
	global_load_dwordx2 v[45:46], v[18:19], off
	global_load_dwordx2 v[48:49], v[20:21], off offset:1664
	v_add_u32_e32 v34, 0x60, v24
	v_add_u32_e32 v33, 0x90, v24
	v_or_b32_e32 v30, 0xc0, v24
	v_add_u32_e32 v32, 0xf0, v24
	v_add_u32_e32 v0, 0x800, v47
	;; [unrolled: 1-line block ×4, first 2 shown]
	s_waitcnt vmcnt(14)
	ds_write2_b64 v47, v[2:3], v[4:5] offset1:48
	s_waitcnt vmcnt(12)
	ds_write2_b64 v47, v[6:7], v[8:9] offset0:96 offset1:144
	s_waitcnt vmcnt(10)
	ds_write2_b64 v47, v[10:11], v[12:13] offset0:192 offset1:240
	;; [unrolled: 2-line block ×7, first 2 shown]
.LBB0_13:
	s_or_b64 exec, exec, s[4:5]
	v_add_u32_e32 v25, 0x800, v47
	s_waitcnt lgkmcnt(0)
	; wave barrier
	s_waitcnt lgkmcnt(0)
	ds_read2_b64 v[0:3], v47 offset1:48
	ds_read2_b64 v[4:7], v25 offset0:128 offset1:176
	v_add_u32_e32 v19, 0x1000, v47
	s_movk_i32 s0, 0x78
	v_lshl_add_u32 v52, v26, 3, 0
	v_lshl_add_u32 v51, v34, 3, 0
	s_waitcnt lgkmcnt(0)
	v_sub_f32_e32 v12, v0, v4
	v_sub_f32_e32 v13, v1, v5
	;; [unrolled: 1-line block ×4, first 2 shown]
	ds_read2_b64 v[4:7], v47 offset0:192 offset1:240
	ds_read2_b64 v[8:11], v19 offset0:64 offset1:112
	v_fma_f32 v16, v0, 2.0, -v12
	v_add_u32_e32 v0, 0xc00, v47
	v_fma_f32 v17, v1, 2.0, -v13
	v_fma_f32 v18, v2, 2.0, -v14
	;; [unrolled: 1-line block ×3, first 2 shown]
	s_waitcnt lgkmcnt(0)
	v_sub_f32_e32 v21, v4, v8
	v_sub_f32_e32 v22, v5, v9
	;; [unrolled: 1-line block ×4, first 2 shown]
	ds_read2_b64 v[0:3], v0 offset0:96 offset1:144
	ds_read2_b64 v[8:11], v47 offset0:96 offset1:144
	v_fma_f32 v31, v4, 2.0, -v21
	v_fma_f32 v35, v5, 2.0, -v22
	;; [unrolled: 1-line block ×4, first 2 shown]
	s_waitcnt lgkmcnt(0)
	v_sub_f32_e32 v38, v8, v0
	v_sub_f32_e32 v39, v9, v1
	;; [unrolled: 1-line block ×4, first 2 shown]
	ds_read2_b64 v[0:3], v25 offset0:32 offset1:80
	ds_read2_b64 v[4:7], v19 offset0:160 offset1:208
	v_sub_f32_e32 v22, v12, v22
	v_add_f32_e32 v21, v13, v21
	v_fma_f32 v12, v12, 2.0, -v22
	v_fma_f32 v8, v8, 2.0, -v38
	s_waitcnt lgkmcnt(0)
	v_sub_f32_e32 v5, v1, v5
	v_sub_f32_e32 v4, v0, v4
	;; [unrolled: 1-line block ×3, first 2 shown]
	v_fma_f32 v0, v0, 2.0, -v4
	v_fma_f32 v13, v13, 2.0, -v21
	v_add_f32_e32 v43, v39, v4
	v_fma_f32 v4, v38, 2.0, -v42
	v_mov_b32_e32 v38, v12
	v_fma_f32 v9, v9, 2.0, -v39
	v_sub_f32_e32 v7, v3, v7
	v_fma_f32 v1, v1, 2.0, -v5
	v_fma_f32 v5, v39, 2.0, -v43
	v_fmac_f32_e32 v38, 0xbf3504f3, v4
	v_mov_b32_e32 v39, v13
	v_sub_f32_e32 v27, v14, v27
	v_add_f32_e32 v23, v15, v23
	v_sub_f32_e32 v6, v2, v6
	v_fmac_f32_e32 v39, 0xbf3504f3, v5
	v_fmac_f32_e32 v38, 0xbf3504f3, v5
	v_fma_f32 v5, v14, 2.0, -v27
	v_fma_f32 v14, v15, 2.0, -v23
	v_sub_f32_e32 v15, v40, v7
	v_fma_f32 v10, v10, 2.0, -v40
	v_fmac_f32_e32 v39, 0x3f3504f3, v4
	v_add_f32_e32 v44, v41, v6
	v_fma_f32 v4, v40, 2.0, -v15
	v_mov_b32_e32 v40, v5
	v_fma_f32 v11, v11, 2.0, -v41
	v_fma_f32 v2, v2, 2.0, -v6
	;; [unrolled: 1-line block ×3, first 2 shown]
	v_fmac_f32_e32 v40, 0xbf3504f3, v4
	v_mov_b32_e32 v41, v14
	v_sub_f32_e32 v35, v17, v35
	v_fmac_f32_e32 v41, 0xbf3504f3, v6
	v_fmac_f32_e32 v40, 0xbf3504f3, v6
	v_fma_f32 v6, v17, 2.0, -v35
	v_sub_f32_e32 v17, v9, v1
	v_sub_f32_e32 v31, v16, v31
	v_fma_f32 v1, v9, 2.0, -v17
	v_sub_f32_e32 v9, v18, v36
	v_fma_f32 v3, v3, 2.0, -v7
	v_fmac_f32_e32 v41, 0x3f3504f3, v4
	v_fma_f32 v4, v16, 2.0, -v31
	v_sub_f32_e32 v16, v8, v0
	v_fma_f32 v7, v18, 2.0, -v9
	v_sub_f32_e32 v18, v10, v2
	;; [unrolled: 2-line block ×3, first 2 shown]
	v_fma_f32 v2, v10, 2.0, -v18
	v_fma_f32 v8, v20, 2.0, -v36
	v_sub_f32_e32 v20, v11, v3
	v_sub_f32_e32 v37, v4, v0
	;; [unrolled: 1-line block ×3, first 2 shown]
	v_fma_f32 v3, v11, 2.0, -v20
	v_sub_f32_e32 v45, v6, v1
	v_fma_f32 v0, v4, 2.0, -v37
	v_fma_f32 v1, v7, 2.0, -v46
	v_sub_f32_e32 v48, v8, v3
	v_sub_f32_e32 v1, v0, v1
	v_fma_f32 v2, v8, 2.0, -v48
	v_fma_f32 v3, v0, 2.0, -v1
	;; [unrolled: 1-line block ×4, first 2 shown]
	v_mov_b32_e32 v50, v21
	v_fma_f32 v4, v6, 2.0, -v45
	v_fma_f32 v7, v5, 2.0, -v40
	;; [unrolled: 1-line block ×3, first 2 shown]
	v_mov_b32_e32 v5, v0
	v_mov_b32_e32 v6, v8
	v_mov_b32_e32 v49, v22
	v_fmac_f32_e32 v50, 0x3f3504f3, v43
	v_fmac_f32_e32 v5, 0xbf6c835e, v7
	;; [unrolled: 1-line block ×5, first 2 shown]
	v_mov_b32_e32 v42, v27
	v_sub_f32_e32 v2, v4, v2
	v_fmac_f32_e32 v5, 0xbec3ef15, v10
	v_fmac_f32_e32 v6, 0x3ec3ef15, v7
	;; [unrolled: 1-line block ×4, first 2 shown]
	v_mov_b32_e32 v43, v23
	v_fma_f32 v4, v4, 2.0, -v2
	v_fma_f32 v7, v0, 2.0, -v5
	;; [unrolled: 1-line block ×3, first 2 shown]
	v_mad_u32_u24 v0, v24, s0, v47
	v_fmac_f32_e32 v43, 0x3f3504f3, v44
	v_fmac_f32_e32 v42, 0xbf3504f3, v44
	v_sub_f32_e32 v17, v31, v17
	v_add_f32_e32 v44, v35, v16
	s_waitcnt lgkmcnt(0)
	; wave barrier
	ds_write2_b64 v0, v[3:4], v[7:8] offset1:1
	v_fma_f32 v7, v31, 2.0, -v17
	v_fma_f32 v8, v35, 2.0, -v44
	v_sub_f32_e32 v20, v9, v20
	v_add_f32_e32 v18, v36, v18
	v_fma_f32 v9, v9, 2.0, -v20
	v_fma_f32 v10, v36, 2.0, -v18
	v_mov_b32_e32 v3, v7
	v_mov_b32_e32 v4, v8
	v_fmac_f32_e32 v43, 0x3f3504f3, v15
	v_fmac_f32_e32 v3, 0xbf3504f3, v9
	;; [unrolled: 1-line block ×3, first 2 shown]
	v_fma_f32 v11, v22, 2.0, -v49
	v_fma_f32 v12, v21, 2.0, -v50
	v_fmac_f32_e32 v3, 0xbf3504f3, v10
	v_fmac_f32_e32 v4, 0x3f3504f3, v9
	v_fma_f32 v13, v27, 2.0, -v42
	v_fma_f32 v14, v23, 2.0, -v43
	v_mov_b32_e32 v9, v11
	v_mov_b32_e32 v10, v12
	v_fmac_f32_e32 v9, 0xbec3ef15, v13
	v_fmac_f32_e32 v10, 0xbec3ef15, v14
	;; [unrolled: 1-line block ×4, first 2 shown]
	v_mov_b32_e32 v13, v38
	v_mov_b32_e32 v14, v39
	v_fma_f32 v7, v7, 2.0, -v3
	v_fma_f32 v8, v8, 2.0, -v4
	;; [unrolled: 1-line block ×4, first 2 shown]
	v_fmac_f32_e32 v13, 0x3ec3ef15, v40
	v_fmac_f32_e32 v14, 0x3ec3ef15, v41
	ds_write2_b64 v0, v[7:8], v[11:12] offset0:2 offset1:3
	v_sub_f32_e32 v7, v37, v48
	v_add_f32_e32 v8, v45, v46
	v_fmac_f32_e32 v13, 0xbf6c835e, v41
	v_fmac_f32_e32 v14, 0x3f6c835e, v40
	v_fma_f32 v11, v37, 2.0, -v7
	v_fma_f32 v12, v45, 2.0, -v8
	v_fma_f32 v15, v38, 2.0, -v13
	v_fma_f32 v16, v39, 2.0, -v14
	ds_write2_b64 v0, v[11:12], v[15:16] offset0:4 offset1:5
	v_mov_b32_e32 v11, v17
	v_mov_b32_e32 v12, v44
	;; [unrolled: 1-line block ×4, first 2 shown]
	v_fmac_f32_e32 v11, 0x3f3504f3, v20
	v_fmac_f32_e32 v12, 0x3f3504f3, v18
	;; [unrolled: 1-line block ×8, first 2 shown]
	v_fma_f32 v15, v17, 2.0, -v11
	v_fma_f32 v16, v44, 2.0, -v12
	;; [unrolled: 1-line block ×4, first 2 shown]
	ds_write2_b64 v0, v[15:16], v[17:18] offset0:6 offset1:7
	ds_write2_b64 v0, v[1:2], v[5:6] offset0:8 offset1:9
	;; [unrolled: 1-line block ×5, first 2 shown]
	s_waitcnt lgkmcnt(0)
	; wave barrier
	s_waitcnt lgkmcnt(0)
	v_lshl_add_u32 v50, v33, 3, 0
	v_lshl_add_u32 v49, v30, 3, 0
	ds_read_b64 v[43:44], v52
	ds_read_b64 v[41:42], v51
	;; [unrolled: 1-line block ×4, first 2 shown]
	ds_read_b64 v[45:46], v47 offset:5632
	ds_read2_b64 v[20:23], v19 offset1:48
	ds_read2_b64 v[12:15], v19 offset0:96 offset1:144
	ds_read2_b64 v[16:19], v25 offset0:48 offset1:96
	;; [unrolled: 1-line block ×3, first 2 shown]
	ds_read2st64_b64 v[4:7], v47 offset1:4
	v_cmp_gt_u32_e64 s[0:1], 16, v24
	v_lshl_add_u32 v48, v32, 3, 0
                                        ; implicit-def: $vgpr3
	s_and_saveexec_b64 s[4:5], s[0:1]
	s_cbranch_execz .LBB0_15
; %bb.14:
	s_movk_i32 s6, 0xff88
	v_mad_i32_i24 v0, v24, s6, v0
	v_add_u32_e32 v0, 0x180, v0
	ds_read_b64 v[35:36], v48
	ds_read2st64_b64 v[0:3], v0 offset0:7 offset1:11
.LBB0_15:
	s_or_b64 exec, exec, s[4:5]
	v_and_b32_e32 v25, 15, v24
	v_lshlrev_b32_e32 v27, 4, v25
	global_load_dwordx4 v[53:56], v27, s[8:9]
	s_waitcnt lgkmcnt(0)
	; wave barrier
	s_waitcnt vmcnt(0) lgkmcnt(0)
	v_mul_f32_e32 v27, v54, v7
	v_fma_f32 v27, v53, v6, -v27
	v_mul_f32_e32 v31, v54, v6
	v_mul_f32_e32 v6, v56, v21
	v_fma_f32 v57, v55, v20, -v6
	v_mul_f32_e32 v20, v56, v20
	v_mul_f32_e32 v6, v54, v17
	v_fmac_f32_e32 v20, v55, v21
	v_fma_f32 v21, v53, v16, -v6
	v_mul_f32_e32 v16, v54, v16
	v_mul_f32_e32 v6, v56, v23
	v_fmac_f32_e32 v16, v53, v17
	;; [unrolled: 4-line block ×4, first 2 shown]
	v_fma_f32 v19, v55, v12, -v6
	v_mul_f32_e32 v6, v54, v9
	v_fma_f32 v59, v53, v8, -v6
	v_mul_f32_e32 v6, v56, v15
	;; [unrolled: 2-line block ×3, first 2 shown]
	v_fmac_f32_e32 v31, v53, v7
	v_mul_f32_e32 v60, v54, v8
	v_fma_f32 v63, v53, v10, -v6
	v_mul_f32_e32 v54, v54, v10
	v_mul_f32_e32 v6, v56, v46
	v_add_f32_e32 v7, v27, v57
	v_fmac_f32_e32 v60, v53, v9
	v_fmac_f32_e32 v54, v53, v11
	v_fma_f32 v53, v55, v45, -v6
	v_add_f32_e32 v6, v4, v27
	v_fma_f32 v4, -0.5, v7, v4
	v_sub_f32_e32 v7, v31, v20
	v_mov_b32_e32 v8, v4
	v_add_f32_e32 v9, v31, v20
	v_fmac_f32_e32 v8, 0x3f5db3d7, v7
	v_fmac_f32_e32 v4, 0xbf5db3d7, v7
	v_add_f32_e32 v7, v5, v31
	v_fma_f32 v5, -0.5, v9, v5
	v_sub_f32_e32 v10, v27, v57
	v_mov_b32_e32 v9, v5
	v_add_f32_e32 v11, v21, v17
	v_mul_f32_e32 v58, v56, v12
	v_fmac_f32_e32 v9, 0xbf5db3d7, v10
	v_fmac_f32_e32 v5, 0x3f5db3d7, v10
	v_add_f32_e32 v10, v43, v21
	v_fma_f32 v43, -0.5, v11, v43
	v_fmac_f32_e32 v58, v55, v13
	v_sub_f32_e32 v11, v16, v22
	v_mov_b32_e32 v12, v43
	v_add_f32_e32 v13, v16, v22
	v_mul_f32_e32 v62, v56, v14
	v_fmac_f32_e32 v12, 0x3f5db3d7, v11
	v_fmac_f32_e32 v43, 0xbf5db3d7, v11
	v_add_f32_e32 v11, v44, v16
	v_fmac_f32_e32 v44, -0.5, v13
	v_fmac_f32_e32 v62, v55, v15
	v_sub_f32_e32 v14, v21, v17
	v_mov_b32_e32 v13, v44
	v_add_f32_e32 v15, v23, v19
	v_fmac_f32_e32 v13, 0xbf5db3d7, v14
	v_fmac_f32_e32 v44, 0x3f5db3d7, v14
	v_add_f32_e32 v14, v41, v23
	v_fma_f32 v41, -0.5, v15, v41
	v_add_f32_e32 v10, v10, v17
	v_sub_f32_e32 v15, v18, v58
	v_mov_b32_e32 v16, v41
	v_add_f32_e32 v17, v18, v58
	v_fmac_f32_e32 v16, 0x3f5db3d7, v15
	v_fmac_f32_e32 v41, 0xbf5db3d7, v15
	v_add_f32_e32 v15, v42, v18
	v_fmac_f32_e32 v42, -0.5, v17
	v_add_f32_e32 v14, v14, v19
	v_sub_f32_e32 v18, v23, v19
	v_mov_b32_e32 v17, v42
	v_add_f32_e32 v19, v59, v61
	v_fmac_f32_e32 v17, 0xbf5db3d7, v18
	v_fmac_f32_e32 v42, 0x3f5db3d7, v18
	v_add_f32_e32 v18, v39, v59
	v_fma_f32 v39, -0.5, v19, v39
	v_add_f32_e32 v7, v7, v20
	v_sub_f32_e32 v19, v60, v62
	v_mov_b32_e32 v20, v39
	v_add_f32_e32 v21, v60, v62
	v_fmac_f32_e32 v20, 0x3f5db3d7, v19
	v_fmac_f32_e32 v39, 0xbf5db3d7, v19
	v_add_f32_e32 v19, v40, v60
	v_fmac_f32_e32 v40, -0.5, v21
	v_mul_f32_e32 v56, v56, v45
	v_add_f32_e32 v11, v11, v22
	v_sub_f32_e32 v22, v59, v61
	v_mov_b32_e32 v21, v40
	v_add_f32_e32 v23, v63, v53
	v_fmac_f32_e32 v56, v55, v46
	v_fmac_f32_e32 v21, 0xbf5db3d7, v22
	;; [unrolled: 1-line block ×3, first 2 shown]
	v_add_f32_e32 v22, v37, v63
	v_fma_f32 v37, -0.5, v23, v37
	v_sub_f32_e32 v23, v54, v56
	v_mov_b32_e32 v45, v37
	v_add_f32_e32 v27, v54, v56
	v_fmac_f32_e32 v45, 0x3f5db3d7, v23
	v_fmac_f32_e32 v37, 0xbf5db3d7, v23
	v_add_f32_e32 v23, v38, v54
	v_fmac_f32_e32 v38, -0.5, v27
	v_sub_f32_e32 v27, v63, v53
	v_mov_b32_e32 v46, v38
	v_fmac_f32_e32 v46, 0xbf5db3d7, v27
	v_fmac_f32_e32 v38, 0x3f5db3d7, v27
	v_lshrrev_b32_e32 v27, 4, v24
	v_mul_u32_u24_e32 v27, 48, v27
	v_or_b32_e32 v27, v27, v25
	v_add_f32_e32 v6, v6, v57
	v_lshl_add_u32 v27, v27, 3, 0
	ds_write2_b64 v27, v[6:7], v[8:9] offset1:16
	ds_write_b64 v27, v[4:5] offset:256
	v_lshrrev_b32_e32 v4, 4, v26
	v_mul_lo_u32 v4, v4, 48
	v_add_f32_e32 v15, v15, v58
	v_add_f32_e32 v18, v18, v61
	;; [unrolled: 1-line block ×3, first 2 shown]
	v_or_b32_e32 v4, v4, v25
	v_lshl_add_u32 v4, v4, 3, 0
	ds_write2_b64 v4, v[10:11], v[12:13] offset1:16
	ds_write_b64 v4, v[43:44] offset:256
	v_lshrrev_b32_e32 v4, 4, v34
	v_mul_lo_u32 v4, v4, 48
	v_add_f32_e32 v22, v22, v53
	v_add_f32_e32 v23, v23, v56
	v_or_b32_e32 v4, v4, v25
	v_lshl_add_u32 v4, v4, 3, 0
	ds_write2_b64 v4, v[14:15], v[16:17] offset1:16
	ds_write_b64 v4, v[41:42] offset:256
	v_lshrrev_b32_e32 v4, 4, v33
	v_mul_lo_u32 v4, v4, 48
	v_or_b32_e32 v4, v4, v25
	v_lshl_add_u32 v4, v4, 3, 0
	ds_write2_b64 v4, v[18:19], v[20:21] offset1:16
	ds_write_b64 v4, v[39:40] offset:256
	v_lshrrev_b32_e32 v4, 4, v30
	v_mul_lo_u32 v4, v4, 48
	v_or_b32_e32 v4, v4, v25
	v_lshl_add_u32 v4, v4, 3, 0
	ds_write2_b64 v4, v[22:23], v[45:46] offset1:16
	ds_write_b64 v4, v[37:38] offset:256
	s_and_saveexec_b64 s[4:5], s[0:1]
	s_cbranch_execz .LBB0_17
; %bb.16:
	v_lshlrev_b32_e32 v4, 4, v24
	v_and_b32_e32 v4, 0xf0, v4
	global_load_dwordx4 v[4:7], v4, s[8:9]
	v_add_u32_e32 v8, 0x1000, v47
	s_waitcnt vmcnt(0)
	v_mul_f32_e32 v9, v1, v5
	v_mul_f32_e32 v10, v3, v7
	;; [unrolled: 1-line block ×4, first 2 shown]
	v_fma_f32 v0, v0, v4, -v9
	v_fma_f32 v2, v2, v6, -v10
	v_fmac_f32_e32 v5, v1, v4
	v_fmac_f32_e32 v7, v3, v6
	v_add_f32_e32 v1, v5, v7
	v_add_f32_e32 v4, v0, v2
	v_sub_f32_e32 v6, v0, v2
	v_add_f32_e32 v3, v36, v5
	v_sub_f32_e32 v9, v5, v7
	v_add_f32_e32 v5, v35, v0
	v_fma_f32 v1, -0.5, v1, v36
	v_fma_f32 v0, -0.5, v4, v35
	v_add_f32_e32 v3, v3, v7
	v_add_f32_e32 v2, v5, v2
	v_mov_b32_e32 v5, v1
	v_fmac_f32_e32 v1, 0xbf5db3d7, v6
	v_mov_b32_e32 v4, v0
	v_fmac_f32_e32 v0, 0x3f5db3d7, v9
	v_fmac_f32_e32 v5, 0x3f5db3d7, v6
	;; [unrolled: 1-line block ×3, first 2 shown]
	ds_write2_b64 v8, v[2:3], v[0:1] offset0:208 offset1:224
	ds_write_b64 v47, v[4:5] offset:6016
.LBB0_17:
	s_or_b64 exec, exec, s[4:5]
	v_mul_u32_u24_e32 v0, 15, v24
	v_lshlrev_b32_e32 v25, 3, v0
	s_waitcnt lgkmcnt(0)
	; wave barrier
	s_waitcnt lgkmcnt(0)
	global_load_dwordx4 v[0:3], v25, s[8:9] offset:256
	global_load_dwordx4 v[4:7], v25, s[8:9] offset:272
	global_load_dwordx4 v[8:11], v25, s[8:9] offset:288
	global_load_dwordx4 v[12:15], v25, s[8:9] offset:304
	global_load_dwordx4 v[16:19], v25, s[8:9] offset:320
	global_load_dwordx4 v[20:23], v25, s[8:9] offset:336
	global_load_dwordx4 v[35:38], v25, s[8:9] offset:352
	global_load_dwordx2 v[39:40], v25, s[8:9] offset:368
	ds_read_b64 v[41:42], v52
	ds_read_b64 v[43:44], v51
	;; [unrolled: 1-line block ×5, first 2 shown]
	v_add_u32_e32 v25, 0x800, v47
	v_add_u32_e32 v27, 0xc00, v47
	;; [unrolled: 1-line block ×3, first 2 shown]
	s_add_u32 s6, s8, 0x1780
	s_addc_u32 s7, s9, 0
	v_cmp_ne_u32_e64 s[0:1], 0, v24
	s_waitcnt vmcnt(7) lgkmcnt(4)
	v_mul_f32_e32 v57, v1, v42
	v_mul_f32_e32 v58, v1, v41
	v_fma_f32 v41, v0, v41, -v57
	v_fmac_f32_e32 v58, v0, v42
	s_waitcnt lgkmcnt(3)
	v_mul_f32_e32 v0, v3, v44
	v_mul_f32_e32 v42, v3, v43
	v_fma_f32 v43, v2, v43, -v0
	v_fmac_f32_e32 v42, v2, v44
	ds_read2_b64 v[0:3], v25 offset0:32 offset1:80
	s_waitcnt vmcnt(6) lgkmcnt(3)
	v_mul_f32_e32 v44, v5, v46
	v_mul_f32_e32 v57, v5, v45
	v_fma_f32 v44, v4, v45, -v44
	v_fmac_f32_e32 v57, v4, v46
	s_waitcnt lgkmcnt(2)
	v_mul_f32_e32 v4, v7, v54
	v_mul_f32_e32 v45, v7, v53
	v_fma_f32 v46, v6, v53, -v4
	v_fmac_f32_e32 v45, v6, v54
	ds_read2_b64 v[4:7], v25 offset0:128 offset1:176
	s_waitcnt vmcnt(5) lgkmcnt(2)
	v_mul_f32_e32 v53, v56, v9
	v_mul_f32_e32 v9, v55, v9
	v_fma_f32 v53, v55, v8, -v53
	v_fmac_f32_e32 v9, v56, v8
	s_waitcnt lgkmcnt(1)
	v_mul_f32_e32 v8, v1, v11
	v_mul_f32_e32 v11, v0, v11
	v_fma_f32 v8, v0, v10, -v8
	v_fmac_f32_e32 v11, v1, v10
	s_waitcnt vmcnt(4)
	v_mul_f32_e32 v0, v3, v13
	v_mul_f32_e32 v10, v2, v13
	v_fma_f32 v13, v2, v12, -v0
	v_fmac_f32_e32 v10, v3, v12
	ds_read2_b64 v[0:3], v27 offset0:96 offset1:144
	s_waitcnt lgkmcnt(1)
	v_mul_f32_e32 v12, v5, v15
	v_mul_f32_e32 v15, v4, v15
	s_waitcnt vmcnt(3)
	v_mul_f32_e32 v27, v7, v17
	v_fma_f32 v12, v4, v14, -v12
	v_fmac_f32_e32 v15, v5, v14
	v_mul_f32_e32 v14, v6, v17
	v_fma_f32 v17, v6, v16, -v27
	v_fmac_f32_e32 v14, v7, v16
	ds_read2_b64 v[4:7], v31 offset0:64 offset1:112
	s_waitcnt lgkmcnt(1)
	v_mul_f32_e32 v16, v1, v19
	v_mul_f32_e32 v19, v0, v19
	s_waitcnt vmcnt(2)
	v_mul_f32_e32 v27, v3, v21
	v_fma_f32 v16, v0, v18, -v16
	v_fmac_f32_e32 v19, v1, v18
	v_mul_f32_e32 v18, v2, v21
	v_fma_f32 v21, v2, v20, -v27
	v_fmac_f32_e32 v18, v3, v20
	ds_read2_b64 v[0:3], v31 offset0:160 offset1:208
	s_waitcnt lgkmcnt(1)
	v_mul_f32_e32 v20, v5, v23
	v_mul_f32_e32 v23, v4, v23
	v_fma_f32 v20, v4, v22, -v20
	v_fmac_f32_e32 v23, v5, v22
	ds_read_b64 v[4:5], v47
	s_waitcnt vmcnt(1)
	v_mul_f32_e32 v22, v7, v36
	v_mul_f32_e32 v27, v6, v36
	v_fma_f32 v6, v6, v35, -v22
	v_fmac_f32_e32 v27, v7, v35
	s_waitcnt lgkmcnt(1)
	v_mul_f32_e32 v7, v0, v38
	s_waitcnt vmcnt(0)
	v_mul_f32_e32 v22, v3, v40
	v_mul_f32_e32 v36, v1, v38
	v_fmac_f32_e32 v7, v1, v37
	v_fma_f32 v1, v2, v39, -v22
	v_mul_f32_e32 v2, v2, v40
	v_fma_f32 v0, v0, v37, -v36
	v_fmac_f32_e32 v2, v3, v39
	s_waitcnt lgkmcnt(0)
	v_sub_f32_e32 v3, v4, v12
	v_sub_f32_e32 v12, v5, v15
	;; [unrolled: 1-line block ×4, first 2 shown]
	v_fma_f32 v23, v45, 2.0, -v20
	v_sub_f32_e32 v16, v43, v16
	v_sub_f32_e32 v19, v42, v19
	;; [unrolled: 1-line block ×13, first 2 shown]
	v_fma_f32 v4, v4, 2.0, -v3
	v_fma_f32 v5, v5, 2.0, -v12
	;; [unrolled: 1-line block ×15, first 2 shown]
	v_add_f32_e32 v15, v12, v15
	v_fma_f32 v3, v3, 2.0, -v20
	v_sub_f32_e32 v7, v16, v7
	v_sub_f32_e32 v22, v4, v22
	;; [unrolled: 1-line block ×3, first 2 shown]
	v_fma_f32 v12, v12, 2.0, -v15
	v_sub_f32_e32 v8, v35, v8
	v_sub_f32_e32 v11, v36, v11
	v_add_f32_e32 v0, v19, v0
	v_fma_f32 v16, v16, 2.0, -v7
	v_sub_f32_e32 v39, v37, v39
	v_sub_f32_e32 v9, v38, v9
	;; [unrolled: 1-line block ×4, first 2 shown]
	v_mov_b32_e32 v42, v3
	v_fma_f32 v19, v19, 2.0, -v0
	v_fma_f32 v37, v37, 2.0, -v39
	;; [unrolled: 1-line block ×3, first 2 shown]
	v_sub_f32_e32 v27, v17, v27
	v_add_f32_e32 v6, v14, v6
	v_fma_f32 v40, v40, 2.0, -v13
	v_fma_f32 v41, v41, 2.0, -v10
	v_fmac_f32_e32 v42, 0xbf3504f3, v16
	v_mov_b32_e32 v43, v12
	v_sub_f32_e32 v44, v22, v11
	v_add_f32_e32 v45, v23, v8
	v_mov_b32_e32 v46, v20
	v_fma_f32 v4, v4, 2.0, -v22
	v_fma_f32 v5, v5, 2.0, -v23
	v_fma_f32 v35, v35, 2.0, -v8
	v_fma_f32 v36, v36, 2.0, -v11
	v_fma_f32 v17, v17, 2.0, -v27
	v_fma_f32 v14, v14, 2.0, -v6
	v_sub_f32_e32 v2, v21, v2
	v_add_f32_e32 v1, v18, v1
	v_fmac_f32_e32 v43, 0xbf3504f3, v19
	v_fmac_f32_e32 v42, 0xbf3504f3, v19
	v_fma_f32 v11, v22, 2.0, -v44
	v_fma_f32 v19, v23, 2.0, -v45
	v_fmac_f32_e32 v46, 0x3f3504f3, v7
	v_mov_b32_e32 v53, v15
	v_sub_f32_e32 v22, v37, v40
	v_sub_f32_e32 v23, v38, v41
	v_fma_f32 v21, v21, 2.0, -v2
	v_fma_f32 v18, v18, 2.0, -v1
	v_sub_f32_e32 v35, v4, v35
	v_sub_f32_e32 v36, v5, v36
	v_fmac_f32_e32 v43, 0x3f3504f3, v16
	v_fma_f32 v16, v3, 2.0, -v42
	v_fmac_f32_e32 v53, 0x3f3504f3, v0
	v_fmac_f32_e32 v46, 0xbf3504f3, v0
	v_fma_f32 v0, v37, 2.0, -v22
	v_fma_f32 v3, v38, 2.0, -v23
	v_mov_b32_e32 v37, v17
	v_mov_b32_e32 v38, v14
	;; [unrolled: 1-line block ×3, first 2 shown]
	v_fma_f32 v4, v4, 2.0, -v35
	v_fma_f32 v5, v5, 2.0, -v36
	v_fmac_f32_e32 v37, 0xbf3504f3, v21
	v_fmac_f32_e32 v38, 0xbf3504f3, v18
	;; [unrolled: 1-line block ×3, first 2 shown]
	v_mov_b32_e32 v55, v6
	v_fma_f32 v12, v12, 2.0, -v43
	v_fmac_f32_e32 v37, 0xbf3504f3, v18
	v_fmac_f32_e32 v38, 0x3f3504f3, v21
	v_fmac_f32_e32 v55, 0x3f3504f3, v1
	v_fmac_f32_e32 v54, 0xbf3504f3, v1
	v_sub_f32_e32 v0, v4, v0
	v_sub_f32_e32 v1, v5, v3
	v_fmac_f32_e32 v53, 0x3f3504f3, v7
	v_fma_f32 v7, v17, 2.0, -v37
	v_fma_f32 v8, v14, 2.0, -v38
	v_fmac_f32_e32 v55, 0x3f3504f3, v2
	v_fma_f32 v2, v4, 2.0, -v0
	v_fma_f32 v3, v5, 2.0, -v1
	v_mov_b32_e32 v4, v16
	v_mov_b32_e32 v5, v12
	v_sub_f32_e32 v40, v39, v10
	v_fmac_f32_e32 v4, 0xbf6c835e, v7
	v_fmac_f32_e32 v5, 0xbf6c835e, v8
	v_fma_f32 v20, v20, 2.0, -v46
	v_add_f32_e32 v41, v9, v13
	v_fma_f32 v10, v39, 2.0, -v40
	v_fmac_f32_e32 v4, 0xbec3ef15, v8
	v_fmac_f32_e32 v5, 0x3ec3ef15, v7
	v_mov_b32_e32 v8, v11
	v_fma_f32 v15, v15, 2.0, -v53
	v_fma_f32 v13, v9, 2.0, -v41
	;; [unrolled: 1-line block ×4, first 2 shown]
	v_fmac_f32_e32 v8, 0xbf3504f3, v10
	v_mov_b32_e32 v9, v19
	v_mov_b32_e32 v12, v20
	v_fma_f32 v17, v6, 2.0, -v55
	v_fmac_f32_e32 v9, 0xbf3504f3, v13
	v_fmac_f32_e32 v8, 0xbf3504f3, v13
	;; [unrolled: 1-line block ×3, first 2 shown]
	v_mov_b32_e32 v13, v15
	v_fmac_f32_e32 v9, 0x3f3504f3, v10
	v_fmac_f32_e32 v13, 0xbec3ef15, v17
	;; [unrolled: 1-line block ×3, first 2 shown]
	v_add_f32_e32 v17, v36, v22
	v_fma_f32 v6, v16, 2.0, -v4
	v_fma_f32 v10, v11, 2.0, -v8
	;; [unrolled: 1-line block ×3, first 2 shown]
	v_sub_f32_e32 v16, v35, v23
	v_fma_f32 v19, v36, 2.0, -v17
	v_mov_b32_e32 v36, v45
	v_fmac_f32_e32 v13, 0x3f6c835e, v14
	v_fma_f32 v14, v20, 2.0, -v12
	v_fma_f32 v18, v35, 2.0, -v16
	v_mov_b32_e32 v20, v42
	v_mov_b32_e32 v21, v43
	;; [unrolled: 1-line block ×3, first 2 shown]
	v_fmac_f32_e32 v36, 0x3f3504f3, v41
	v_fmac_f32_e32 v20, 0x3ec3ef15, v37
	;; [unrolled: 1-line block ×5, first 2 shown]
	v_mov_b32_e32 v39, v46
	v_mov_b32_e32 v40, v53
	v_fmac_f32_e32 v20, 0xbf6c835e, v38
	v_fmac_f32_e32 v21, 0x3f6c835e, v37
	;; [unrolled: 1-line block ×5, first 2 shown]
	v_fma_f32 v15, v15, 2.0, -v13
	v_fma_f32 v22, v42, 2.0, -v20
	;; [unrolled: 1-line block ×5, first 2 shown]
	v_fmac_f32_e32 v39, 0xbec3ef15, v55
	v_fmac_f32_e32 v40, 0x3ec3ef15, v54
	s_waitcnt lgkmcnt(0)
	; wave barrier
	ds_write2_b64 v47, v[2:3], v[6:7] offset1:48
	ds_write2_b64 v47, v[10:11], v[14:15] offset0:96 offset1:144
	ds_write_b64 v49, v[18:19]
	v_add_u32_e32 v2, 0x400, v47
	v_fma_f32 v41, v46, 2.0, -v39
	v_fma_f32 v42, v53, 2.0, -v40
	ds_write2_b64 v2, v[22:23], v[37:38] offset0:112 offset1:160
	ds_write2_b64 v25, v[41:42], v[0:1] offset0:80 offset1:128
	ds_write2_b64 v25, v[4:5], v[8:9] offset0:176 offset1:224
	ds_write2_b64 v31, v[12:13], v[16:17] offset0:16 offset1:64
	ds_write2_b64 v31, v[20:21], v[35:36] offset0:112 offset1:160
	ds_write_b64 v47, v[39:40] offset:5760
	s_waitcnt lgkmcnt(0)
	; wave barrier
	s_waitcnt lgkmcnt(0)
	ds_read_b64 v[4:5], v47
	v_lshlrev_b32_e32 v0, 3, v24
	v_sub_u32_e32 v6, 0, v0
                                        ; implicit-def: $vgpr2
                                        ; implicit-def: $vgpr7
                                        ; implicit-def: $vgpr8
                                        ; implicit-def: $vgpr0_vgpr1
	s_and_saveexec_b64 s[4:5], s[0:1]
	s_xor_b64 s[4:5], exec, s[4:5]
	s_cbranch_execz .LBB0_19
; %bb.18:
	v_mov_b32_e32 v25, 0
	v_lshlrev_b64 v[0:1], 3, v[24:25]
	v_mov_b32_e32 v2, s7
	v_add_co_u32_e64 v0, s[0:1], s6, v0
	v_addc_co_u32_e64 v1, s[0:1], v2, v1, s[0:1]
	global_load_dwordx2 v[0:1], v[0:1], off
	ds_read_b64 v[2:3], v6 offset:6144
	s_waitcnt lgkmcnt(0)
	v_add_f32_e32 v9, v2, v4
	v_sub_f32_e32 v2, v4, v2
	v_add_f32_e32 v7, v3, v5
	v_sub_f32_e32 v3, v5, v3
	v_mul_f32_e32 v2, 0.5, v2
	v_mul_f32_e32 v4, 0.5, v7
	;; [unrolled: 1-line block ×3, first 2 shown]
	s_waitcnt vmcnt(0)
	v_mul_f32_e32 v5, v1, v2
	v_fma_f32 v8, v4, v1, v3
	v_fma_f32 v1, v4, v1, -v3
	v_fma_f32 v7, 0.5, v9, v5
	v_fma_f32 v5, v9, 0.5, -v5
	v_fma_f32 v8, -v0, v2, v8
	v_fma_f32 v3, -v0, v2, v1
	v_fmac_f32_e32 v7, v0, v4
	v_fma_f32 v2, -v0, v4, v5
	v_mov_b32_e32 v0, v24
	v_mov_b32_e32 v1, v25
                                        ; implicit-def: $vgpr4_vgpr5
.LBB0_19:
	s_andn2_saveexec_b64 s[0:1], s[4:5]
	s_cbranch_execz .LBB0_21
; %bb.20:
	v_mov_b32_e32 v8, 0
	ds_read_b32 v3, v8 offset:3076
	v_mov_b32_e32 v0, 0
	s_waitcnt lgkmcnt(1)
	v_add_f32_e32 v7, v4, v5
	v_sub_f32_e32 v2, v4, v5
	v_mov_b32_e32 v1, 0
	s_waitcnt lgkmcnt(0)
	v_xor_b32_e32 v3, 0x80000000, v3
	ds_write_b32 v8, v3 offset:3076
	v_mov_b32_e32 v3, 0
.LBB0_21:
	s_or_b64 exec, exec, s[0:1]
	v_mov_b32_e32 v27, 0
	s_waitcnt lgkmcnt(0)
	v_lshlrev_b64 v[4:5], 3, v[26:27]
	v_mov_b32_e32 v9, s7
	v_add_co_u32_e64 v4, s[0:1], s6, v4
	v_addc_co_u32_e64 v5, s[0:1], v9, v5, s[0:1]
	global_load_dwordx2 v[4:5], v[4:5], off
	v_mov_b32_e32 v35, v27
	v_lshlrev_b64 v[9:10], 3, v[34:35]
	v_mov_b32_e32 v11, s7
	v_add_co_u32_e64 v9, s[0:1], s6, v9
	v_addc_co_u32_e64 v10, s[0:1], v11, v10, s[0:1]
	global_load_dwordx2 v[9:10], v[9:10], off
	v_mov_b32_e32 v34, v27
	;; [unrolled: 6-line block ×3, first 2 shown]
	v_lshlrev_b64 v[13:14], 3, v[30:31]
	v_mov_b32_e32 v17, s7
	v_add_co_u32_e64 v13, s[0:1], s6, v13
	ds_write2_b32 v47, v7, v8 offset1:1
	ds_write_b64 v6, v[2:3] offset:6144
	v_addc_co_u32_e64 v14, s[0:1], v17, v14, s[0:1]
	ds_read_b64 v[2:3], v52
	ds_read_b64 v[7:8], v6 offset:5760
	global_load_dwordx2 v[13:14], v[13:14], off
	v_mov_b32_e32 v33, v27
	v_lshlrev_b64 v[15:16], 3, v[32:33]
	v_mov_b32_e32 v18, s7
	s_waitcnt lgkmcnt(0)
	v_add_f32_e32 v17, v2, v7
	v_sub_f32_e32 v2, v2, v7
	v_add_f32_e32 v20, v3, v8
	v_sub_f32_e32 v3, v3, v8
	v_mul_f32_e32 v2, 0.5, v2
	v_mul_f32_e32 v7, 0.5, v20
	;; [unrolled: 1-line block ×3, first 2 shown]
	v_lshlrev_b64 v[0:1], 3, v[0:1]
	v_mov_b32_e32 v19, s7
	s_waitcnt vmcnt(3)
	v_mul_f32_e32 v8, v5, v2
	v_fma_f32 v20, v7, v5, v3
	v_fma_f32 v3, v7, v5, -v3
	v_fma_f32 v5, 0.5, v17, v8
	v_fma_f32 v8, v17, 0.5, -v8
	v_fma_f32 v20, -v4, v2, v20
	v_fma_f32 v3, -v4, v2, v3
	v_fmac_f32_e32 v5, v4, v7
	v_fma_f32 v2, -v4, v7, v8
	v_add_co_u32_e64 v7, s[0:1], s6, v15
	ds_write2_b32 v52, v5, v20 offset1:1
	ds_write_b64 v6, v[2:3] offset:5760
	v_addc_co_u32_e64 v8, s[0:1], v18, v16, s[0:1]
	ds_read_b64 v[2:3], v51
	ds_read_b64 v[4:5], v6 offset:5376
	global_load_dwordx2 v[7:8], v[7:8], off
	s_waitcnt lgkmcnt(0)
	v_add_f32_e32 v15, v2, v4
	v_sub_f32_e32 v2, v2, v4
	v_add_f32_e32 v16, v3, v5
	v_sub_f32_e32 v3, v3, v5
	v_mul_f32_e32 v2, 0.5, v2
	v_mul_f32_e32 v4, 0.5, v16
	;; [unrolled: 1-line block ×3, first 2 shown]
	s_waitcnt vmcnt(3)
	v_mul_f32_e32 v5, v10, v2
	v_fma_f32 v16, v4, v10, v3
	v_fma_f32 v3, v4, v10, -v3
	v_fma_f32 v10, 0.5, v15, v5
	v_fma_f32 v5, v15, 0.5, -v5
	v_fma_f32 v16, -v9, v2, v16
	v_fma_f32 v3, -v9, v2, v3
	v_fmac_f32_e32 v10, v9, v4
	v_fma_f32 v2, -v9, v4, v5
	v_add_co_u32_e64 v9, s[0:1], s6, v0
	ds_write2_b32 v51, v10, v16 offset1:1
	ds_write_b64 v6, v[2:3] offset:5376
	v_addc_co_u32_e64 v10, s[0:1], v19, v1, s[0:1]
	ds_read_b64 v[2:3], v50
	ds_read_b64 v[4:5], v6 offset:4992
	global_load_dwordx2 v[15:16], v[9:10], off offset:2304
	s_waitcnt lgkmcnt(0)
	v_add_f32_e32 v17, v2, v4
	v_sub_f32_e32 v2, v2, v4
	v_add_f32_e32 v18, v3, v5
	v_sub_f32_e32 v3, v3, v5
	v_mul_f32_e32 v2, 0.5, v2
	v_mul_f32_e32 v4, 0.5, v18
	;; [unrolled: 1-line block ×3, first 2 shown]
	s_waitcnt vmcnt(3)
	v_mul_f32_e32 v5, v12, v2
	v_fma_f32 v18, v4, v12, v3
	v_fma_f32 v3, v4, v12, -v3
	v_fma_f32 v12, 0.5, v17, v5
	v_fma_f32 v18, -v11, v2, v18
	v_fma_f32 v5, v17, 0.5, -v5
	v_fmac_f32_e32 v12, v11, v4
	v_fma_f32 v3, -v11, v2, v3
	v_fma_f32 v2, -v11, v4, v5
	ds_write2_b32 v50, v12, v18 offset1:1
	ds_write_b64 v6, v[2:3] offset:4992
	ds_read_b64 v[2:3], v49
	ds_read_b64 v[4:5], v6 offset:4608
	global_load_dwordx2 v[9:10], v[9:10], off offset:2688
	s_waitcnt lgkmcnt(0)
	v_add_f32_e32 v11, v2, v4
	v_sub_f32_e32 v2, v2, v4
	v_add_f32_e32 v12, v3, v5
	v_sub_f32_e32 v3, v3, v5
	v_mul_f32_e32 v5, 0.5, v2
	v_mul_f32_e32 v4, 0.5, v12
	;; [unrolled: 1-line block ×3, first 2 shown]
	s_waitcnt vmcnt(3)
	v_mul_f32_e32 v2, v14, v5
	v_fma_f32 v12, 0.5, v11, v2
	v_fma_f32 v17, v4, v14, v3
	v_fmac_f32_e32 v12, v13, v4
	v_fma_f32 v17, -v13, v5, v17
	v_fma_f32 v2, v11, 0.5, -v2
	v_fma_f32 v3, v4, v14, -v3
	v_fma_f32 v2, -v13, v4, v2
	v_fma_f32 v3, -v13, v5, v3
	ds_write2_b32 v49, v12, v17 offset1:1
	ds_write_b64 v6, v[2:3] offset:4608
	ds_read_b64 v[2:3], v48
	ds_read_b64 v[4:5], v6 offset:4224
	s_waitcnt lgkmcnt(0)
	v_add_f32_e32 v11, v2, v4
	v_sub_f32_e32 v2, v2, v4
	v_add_f32_e32 v12, v3, v5
	v_sub_f32_e32 v3, v3, v5
	v_mul_f32_e32 v4, 0.5, v2
	v_mul_f32_e32 v12, 0.5, v12
	;; [unrolled: 1-line block ×3, first 2 shown]
	s_waitcnt vmcnt(2)
	v_mul_f32_e32 v2, v8, v4
	v_fma_f32 v5, 0.5, v11, v2
	v_fma_f32 v13, v12, v8, v3
	v_fmac_f32_e32 v5, v7, v12
	v_fma_f32 v13, -v7, v4, v13
	v_fma_f32 v2, v11, 0.5, -v2
	v_fma_f32 v3, v12, v8, -v3
	v_fma_f32 v2, -v7, v12, v2
	v_fma_f32 v3, -v7, v4, v3
	ds_write2_b32 v48, v5, v13 offset1:1
	ds_write_b64 v6, v[2:3] offset:4224
	ds_read_b64 v[2:3], v47 offset:2304
	ds_read_b64 v[4:5], v6 offset:3840
	s_waitcnt lgkmcnt(0)
	v_add_f32_e32 v7, v2, v4
	v_sub_f32_e32 v2, v2, v4
	v_add_f32_e32 v8, v3, v5
	v_sub_f32_e32 v3, v3, v5
	v_mul_f32_e32 v4, 0.5, v2
	v_mul_f32_e32 v8, 0.5, v8
	;; [unrolled: 1-line block ×3, first 2 shown]
	s_waitcnt vmcnt(1)
	v_mul_f32_e32 v2, v16, v4
	v_fma_f32 v5, 0.5, v7, v2
	v_fma_f32 v11, v8, v16, v3
	v_fma_f32 v3, v8, v16, -v3
	v_fmac_f32_e32 v5, v15, v8
	v_fma_f32 v11, -v15, v4, v11
	v_fma_f32 v2, v7, 0.5, -v2
	v_fma_f32 v3, -v15, v4, v3
	v_add_u32_e32 v4, 0x800, v47
	v_fma_f32 v2, -v15, v8, v2
	ds_write2_b32 v4, v5, v11 offset0:64 offset1:65
	ds_write_b64 v6, v[2:3] offset:3840
	ds_read_b64 v[2:3], v47 offset:2688
	ds_read_b64 v[7:8], v6 offset:3456
	s_waitcnt lgkmcnt(0)
	v_add_f32_e32 v5, v2, v7
	v_sub_f32_e32 v2, v2, v7
	v_add_f32_e32 v11, v3, v8
	v_sub_f32_e32 v3, v3, v8
	v_mul_f32_e32 v7, 0.5, v2
	v_mul_f32_e32 v11, 0.5, v11
	;; [unrolled: 1-line block ×3, first 2 shown]
	s_waitcnt vmcnt(0)
	v_mul_f32_e32 v2, v10, v7
	v_fma_f32 v8, 0.5, v5, v2
	v_fma_f32 v12, v11, v10, v3
	v_fmac_f32_e32 v8, v9, v11
	v_fma_f32 v12, -v9, v7, v12
	v_fma_f32 v2, v5, 0.5, -v2
	v_fma_f32 v3, v11, v10, -v3
	v_fma_f32 v2, -v9, v11, v2
	v_fma_f32 v3, -v9, v7, v3
	ds_write2_b32 v4, v8, v12 offset0:160 offset1:161
	ds_write_b64 v6, v[2:3] offset:3456
	s_waitcnt lgkmcnt(0)
	; wave barrier
	s_waitcnt lgkmcnt(0)
	s_and_saveexec_b64 s[0:1], vcc
	s_cbranch_execz .LBB0_24
; %bb.22:
	ds_read2_b64 v[5:8], v47 offset1:48
	v_mov_b32_e32 v2, s3
	v_add_co_u32_e32 v3, vcc, s2, v28
	v_addc_co_u32_e32 v2, vcc, v2, v29, vcc
	ds_read2_b64 v[9:12], v47 offset0:96 offset1:144
	v_add_co_u32_e32 v0, vcc, v3, v0
	v_addc_co_u32_e32 v1, vcc, v2, v1, vcc
	ds_read2_b64 v[13:16], v47 offset0:192 offset1:240
	s_waitcnt lgkmcnt(2)
	global_store_dwordx2 v[0:1], v[5:6], off
	global_store_dwordx2 v[0:1], v[7:8], off offset:384
	s_waitcnt lgkmcnt(1)
	global_store_dwordx2 v[0:1], v[9:10], off offset:768
	global_store_dwordx2 v[0:1], v[11:12], off offset:1152
	s_waitcnt lgkmcnt(0)
	global_store_dwordx2 v[0:1], v[13:14], off offset:1536
	ds_read2_b64 v[5:8], v4 offset0:32 offset1:80
	ds_read2_b64 v[9:12], v4 offset0:128 offset1:176
	v_add_u32_e32 v4, 0xc00, v47
	global_store_dwordx2 v[0:1], v[15:16], off offset:1920
	ds_read2_b64 v[13:16], v4 offset0:96 offset1:144
	s_waitcnt lgkmcnt(2)
	global_store_dwordx2 v[0:1], v[5:6], off offset:2304
	global_store_dwordx2 v[0:1], v[7:8], off offset:2688
	s_waitcnt lgkmcnt(1)
	global_store_dwordx2 v[0:1], v[9:10], off offset:3072
	global_store_dwordx2 v[0:1], v[11:12], off offset:3456
	s_waitcnt lgkmcnt(0)
	global_store_dwordx2 v[0:1], v[13:14], off offset:3840
	s_movk_i32 s0, 0x1000
	v_or_b32_e32 v26, 0x240, v24
	v_add_u32_e32 v8, 0x1000, v47
	v_add_co_u32_e32 v0, vcc, s0, v0
	ds_read2_b64 v[4:7], v8 offset0:64 offset1:112
	v_lshlrev_b64 v[12:13], 3, v[26:27]
	v_addc_co_u32_e32 v1, vcc, 0, v1, vcc
	ds_read2_b64 v[8:11], v8 offset0:160 offset1:208
	v_add_co_u32_e32 v12, vcc, v3, v12
	v_addc_co_u32_e32 v13, vcc, v2, v13, vcc
	v_cmp_eq_u32_e32 vcc, 47, v24
	global_store_dwordx2 v[0:1], v[15:16], off offset:128
	s_waitcnt lgkmcnt(1)
	global_store_dwordx2 v[12:13], v[4:5], off
	global_store_dwordx2 v[0:1], v[6:7], off offset:896
	s_waitcnt lgkmcnt(0)
	global_store_dwordx2 v[0:1], v[8:9], off offset:1280
	global_store_dwordx2 v[0:1], v[10:11], off offset:1664
	s_and_b64 exec, exec, vcc
	s_cbranch_execz .LBB0_24
; %bb.23:
	v_mov_b32_e32 v0, 0
	ds_read_b64 v[0:1], v0 offset:6144
	v_add_co_u32_e32 v3, vcc, 0x1000, v3
	v_addc_co_u32_e32 v4, vcc, 0, v2, vcc
	s_waitcnt lgkmcnt(0)
	global_store_dwordx2 v[3:4], v[0:1], off offset:2048
.LBB0_24:
	s_endpgm
	.section	.rodata,"a",@progbits
	.p2align	6, 0x0
	.amdhsa_kernel fft_rtc_fwd_len768_factors_16_3_16_wgs_48_tpt_48_halfLds_sp_ip_CI_unitstride_sbrr_R2C_dirReg
		.amdhsa_group_segment_fixed_size 0
		.amdhsa_private_segment_fixed_size 0
		.amdhsa_kernarg_size 88
		.amdhsa_user_sgpr_count 6
		.amdhsa_user_sgpr_private_segment_buffer 1
		.amdhsa_user_sgpr_dispatch_ptr 0
		.amdhsa_user_sgpr_queue_ptr 0
		.amdhsa_user_sgpr_kernarg_segment_ptr 1
		.amdhsa_user_sgpr_dispatch_id 0
		.amdhsa_user_sgpr_flat_scratch_init 0
		.amdhsa_user_sgpr_private_segment_size 0
		.amdhsa_uses_dynamic_stack 0
		.amdhsa_system_sgpr_private_segment_wavefront_offset 0
		.amdhsa_system_sgpr_workgroup_id_x 1
		.amdhsa_system_sgpr_workgroup_id_y 0
		.amdhsa_system_sgpr_workgroup_id_z 0
		.amdhsa_system_sgpr_workgroup_info 0
		.amdhsa_system_vgpr_workitem_id 0
		.amdhsa_next_free_vgpr 64
		.amdhsa_next_free_sgpr 22
		.amdhsa_reserve_vcc 1
		.amdhsa_reserve_flat_scratch 0
		.amdhsa_float_round_mode_32 0
		.amdhsa_float_round_mode_16_64 0
		.amdhsa_float_denorm_mode_32 3
		.amdhsa_float_denorm_mode_16_64 3
		.amdhsa_dx10_clamp 1
		.amdhsa_ieee_mode 1
		.amdhsa_fp16_overflow 0
		.amdhsa_exception_fp_ieee_invalid_op 0
		.amdhsa_exception_fp_denorm_src 0
		.amdhsa_exception_fp_ieee_div_zero 0
		.amdhsa_exception_fp_ieee_overflow 0
		.amdhsa_exception_fp_ieee_underflow 0
		.amdhsa_exception_fp_ieee_inexact 0
		.amdhsa_exception_int_div_zero 0
	.end_amdhsa_kernel
	.text
.Lfunc_end0:
	.size	fft_rtc_fwd_len768_factors_16_3_16_wgs_48_tpt_48_halfLds_sp_ip_CI_unitstride_sbrr_R2C_dirReg, .Lfunc_end0-fft_rtc_fwd_len768_factors_16_3_16_wgs_48_tpt_48_halfLds_sp_ip_CI_unitstride_sbrr_R2C_dirReg
                                        ; -- End function
	.section	.AMDGPU.csdata,"",@progbits
; Kernel info:
; codeLenInByte = 7640
; NumSgprs: 26
; NumVgprs: 64
; ScratchSize: 0
; MemoryBound: 0
; FloatMode: 240
; IeeeMode: 1
; LDSByteSize: 0 bytes/workgroup (compile time only)
; SGPRBlocks: 3
; VGPRBlocks: 15
; NumSGPRsForWavesPerEU: 26
; NumVGPRsForWavesPerEU: 64
; Occupancy: 4
; WaveLimiterHint : 1
; COMPUTE_PGM_RSRC2:SCRATCH_EN: 0
; COMPUTE_PGM_RSRC2:USER_SGPR: 6
; COMPUTE_PGM_RSRC2:TRAP_HANDLER: 0
; COMPUTE_PGM_RSRC2:TGID_X_EN: 1
; COMPUTE_PGM_RSRC2:TGID_Y_EN: 0
; COMPUTE_PGM_RSRC2:TGID_Z_EN: 0
; COMPUTE_PGM_RSRC2:TIDIG_COMP_CNT: 0
	.type	__hip_cuid_30e948f0d87dbb05,@object ; @__hip_cuid_30e948f0d87dbb05
	.section	.bss,"aw",@nobits
	.globl	__hip_cuid_30e948f0d87dbb05
__hip_cuid_30e948f0d87dbb05:
	.byte	0                               ; 0x0
	.size	__hip_cuid_30e948f0d87dbb05, 1

	.ident	"AMD clang version 19.0.0git (https://github.com/RadeonOpenCompute/llvm-project roc-6.4.0 25133 c7fe45cf4b819c5991fe208aaa96edf142730f1d)"
	.section	".note.GNU-stack","",@progbits
	.addrsig
	.addrsig_sym __hip_cuid_30e948f0d87dbb05
	.amdgpu_metadata
---
amdhsa.kernels:
  - .args:
      - .actual_access:  read_only
        .address_space:  global
        .offset:         0
        .size:           8
        .value_kind:     global_buffer
      - .offset:         8
        .size:           8
        .value_kind:     by_value
      - .actual_access:  read_only
        .address_space:  global
        .offset:         16
        .size:           8
        .value_kind:     global_buffer
      - .actual_access:  read_only
        .address_space:  global
        .offset:         24
        .size:           8
        .value_kind:     global_buffer
      - .offset:         32
        .size:           8
        .value_kind:     by_value
      - .actual_access:  read_only
        .address_space:  global
        .offset:         40
        .size:           8
        .value_kind:     global_buffer
      - .actual_access:  read_only
        .address_space:  global
        .offset:         48
        .size:           8
        .value_kind:     global_buffer
      - .offset:         56
        .size:           4
        .value_kind:     by_value
      - .actual_access:  read_only
        .address_space:  global
        .offset:         64
        .size:           8
        .value_kind:     global_buffer
      - .actual_access:  read_only
        .address_space:  global
        .offset:         72
        .size:           8
        .value_kind:     global_buffer
      - .address_space:  global
        .offset:         80
        .size:           8
        .value_kind:     global_buffer
    .group_segment_fixed_size: 0
    .kernarg_segment_align: 8
    .kernarg_segment_size: 88
    .language:       OpenCL C
    .language_version:
      - 2
      - 0
    .max_flat_workgroup_size: 48
    .name:           fft_rtc_fwd_len768_factors_16_3_16_wgs_48_tpt_48_halfLds_sp_ip_CI_unitstride_sbrr_R2C_dirReg
    .private_segment_fixed_size: 0
    .sgpr_count:     26
    .sgpr_spill_count: 0
    .symbol:         fft_rtc_fwd_len768_factors_16_3_16_wgs_48_tpt_48_halfLds_sp_ip_CI_unitstride_sbrr_R2C_dirReg.kd
    .uniform_work_group_size: 1
    .uses_dynamic_stack: false
    .vgpr_count:     64
    .vgpr_spill_count: 0
    .wavefront_size: 64
amdhsa.target:   amdgcn-amd-amdhsa--gfx906
amdhsa.version:
  - 1
  - 2
...

	.end_amdgpu_metadata
